;; amdgpu-corpus repo=linkedin/Liger-Kernel kind=triton arch=gfx950 opt=O3 lang=triton
	.amdgcn_target "amdgcn-amd-amdhsa--gfx950"
	.amdhsa_code_object_version 5
	.text
	.globl	_geglu_tanh_backward_kernel     ; -- Begin function _geglu_tanh_backward_kernel
	.p2align	8
	.type	_geglu_tanh_backward_kernel,@function
_geglu_tanh_backward_kernel:            ; @_geglu_tanh_backward_kernel
.Lfunc_begin0:
	.cfi_sections .debug_frame
	.cfi_startproc
; %bb.65:
	.file	1 "/root/src/amdgpu-assembly/repos/linkedin__Liger-Kernel/triton_aot_kernels" "geglu_aot.py"
	.loc	1 34 0 prologue_end             ; geglu_aot.py:34:0
	s_load_dwordx2 s[2:3], s[0:1], 0x0
	s_load_dwordx8 s[4:11], s[0:1], 0x8
	s_load_dwordx2 s[12:13], s[0:1], 0x28
	s_waitcnt lgkmcnt(0)
	s_branch .LBB0_0
	.loc	1 0 0 is_stmt 0                 ; :0:0
.Ltmp0:
	.p2align	8
; %bb.66:
.LBB0_0:
.Ltmp1:
	.loc	1 42 31 is_stmt 1               ; geglu_aot.py:42:31
	v_readfirstlane_b32 s0, v0
	.loc	1 68 30                         ; geglu_aot.py:68:30
	s_and_b32 s9, s0, 0xc0
	.loc	1 38 23                         ; geglu_aot.py:38:23
	s_mul_hi_i32 s1, s8, s14
	s_mul_i32 s0, s8, s14
	.loc	1 38 10 is_stmt 0               ; geglu_aot.py:38:10
	s_lshl_b64 s[0:1], s[0:1], 1
	s_add_u32 s8, s2, s0
	s_addc_u32 s2, s3, s1
	.loc	1 39 9 is_stmt 1                ; geglu_aot.py:39:9
	s_add_u32 s4, s4, s0
	s_addc_u32 s3, s5, s1
	.loc	1 40 9                          ; geglu_aot.py:40:9
	s_add_u32 s0, s6, s0
	s_addc_u32 s1, s7, s1
	.loc	1 42 31                         ; geglu_aot.py:42:31
	v_and_or_b32 v0, v0, 63, s9
	s_mov_b32 s11, 0x27000
	s_mov_b32 s10, 0x7ffffffe
	.loc	1 45 21                         ; geglu_aot.py:45:21
	s_and_b32 s9, s2, 0xffff
	v_lshlrev_b32_e32 v33, 1, v0
	.loc	1 46 20                         ; geglu_aot.py:46:20
	s_and_b32 s5, s3, 0xffff
	.loc	1 47 20                         ; geglu_aot.py:47:20
	s_and_b32 s1, s1, 0xffff
	s_mov_b32 s2, s10
	s_mov_b32 s3, s11
	.loc	1 45 21                         ; geglu_aot.py:45:21
	v_or_b32_e32 v32, 0x1000, v33
	.loc	1 47 20                         ; geglu_aot.py:47:20
	buffer_load_ushort v50, v33, s[0:3], 0 offen
	buffer_load_ushort v51, v33, s[0:3], 0 offen offset:512
	buffer_load_ushort v52, v33, s[0:3], 0 offen offset:1024
	;; [unrolled: 1-line block ×7, first 2 shown]
	buffer_load_ushort v58, v32, s[0:3], 0 offen
	buffer_load_ushort v59, v32, s[0:3], 0 offen offset:512
	buffer_load_ushort v60, v32, s[0:3], 0 offen offset:1024
	;; [unrolled: 1-line block ×7, first 2 shown]
	.loc	1 45 21                         ; geglu_aot.py:45:21
	buffer_load_ushort v48, v33, s[8:11], 0 offen
	buffer_load_ushort v49, v33, s[8:11], 0 offen offset:512
	buffer_load_ushort v46, v33, s[8:11], 0 offen offset:1024
	;; [unrolled: 1-line block ×7, first 2 shown]
	buffer_load_ushort v40, v32, s[8:11], 0 offen
	buffer_load_ushort v41, v32, s[8:11], 0 offen offset:512
	buffer_load_ushort v38, v32, s[8:11], 0 offen offset:1024
	;; [unrolled: 1-line block ×7, first 2 shown]
	.loc	1 46 20                         ; geglu_aot.py:46:20
	s_mov_b32 s6, s10
	s_mov_b32 s7, s11
	buffer_load_ushort v0, v33, s[4:7], 0 offen
	buffer_load_ushort v1, v33, s[4:7], 0 offen offset:512
	buffer_load_ushort v4, v33, s[4:7], 0 offen offset:1024
	;; [unrolled: 1-line block ×7, first 2 shown]
	buffer_load_ushort v14, v32, s[4:7], 0 offen
	buffer_load_ushort v15, v32, s[4:7], 0 offen offset:512
	buffer_load_ushort v18, v32, s[4:7], 0 offen offset:1024
	;; [unrolled: 1-line block ×7, first 2 shown]
	s_mov_b32 s2, 0x3d372713
	s_mov_b32 s6, 0x3f4c422a
                                        ; implicit-def: $vgpr66
	.loc	1 46 60 is_stmt 0               ; geglu_aot.py:46:60
	s_waitcnt vmcnt(15)
	v_cvt_f32_f16_e32 v0, v0
	s_waitcnt vmcnt(14)
	v_cvt_f32_f16_e32 v1, v1
	.loc	1 51 22 is_stmt 1               ; geglu_aot.py:51:22
	v_pk_mul_f32 v[2:3], v[0:1], v[0:1]
	.loc	1 51 30 is_stmt 0               ; geglu_aot.py:51:30
	s_nop 0
	v_pk_mul_f32 v[2:3], v[2:3], v[0:1]
	.loc	1 52 41 is_stmt 1               ; geglu_aot.py:52:41
	s_nop 0
	v_pk_fma_f32 v[2:3], v[2:3], s[2:3], v[0:1] op_sel_hi:[1,0,1]
	s_mov_b32 s2, 0x3f200000
	.loc	1 52 33 is_stmt 0               ; geglu_aot.py:52:33
	v_pk_mul_f32 v[2:3], v[2:3], s[6:7] op_sel_hi:[1,0]
	.loc	1 53 23 is_stmt 1               ; geglu_aot.py:53:23
	s_nop 0
	v_cmp_nlt_f32_e64 s[2:3], |v2|, s2
	s_and_saveexec_b64 s[6:7], s[2:3]
	s_xor_b64 s[2:3], exec, s[6:7]
	s_cbranch_execz .LBB0_2
; %bb.1:
	v_add_f32_e64 v6, |v2|, |v2|
	s_mov_b32 s6, 0x3fb8aa3b
	v_mul_f32_e32 v7, 0x3fb8aa3b, v6
	v_fma_f32 v10, v6, s6, -v7
	v_rndne_f32_e32 v7, v7
	v_fmamk_f32 v10, v6, 0x32a5705f, v10
	v_fma_f32 v11, v6, s6, -v7
	v_add_f32_e32 v10, v11, v10
	v_exp_f32_e32 v10, v10
	v_cvt_i32_f32_e32 v7, v7
	s_mov_b32 s6, 0xc2ce8ed0
	v_cmp_ngt_f32_e32 vcc, s6, v6
	s_mov_b32 s6, 0x42b17218
	v_ldexp_f32 v7, v10, v7
	v_cndmask_b32_e32 v7, 0, v7, vcc
	v_mov_b32_e32 v10, 0x7f800000
	v_cmp_nlt_f32_e32 vcc, s6, v6
	s_nop 1
	v_cndmask_b32_e32 v6, v10, v7, vcc
	v_add_f32_e32 v6, 1.0, v6
	v_rcp_f32_e32 v6, v6
	s_nop 0
	v_fma_f32 v66, v6, -2.0, 1.0
.LBB0_2:                                ; %Flow15
	.loc	1 0 23 is_stmt 0                ; geglu_aot.py:0:23
	s_andn2_saveexec_b64 s[2:3], s[2:3]
; %bb.3:
	.loc	1 53 23 is_stmt 1               ; geglu_aot.py:53:23
	v_mul_f32_e32 v6, v2, v2
	v_mov_b32_e32 v7, 0x3ca908c9
	v_fmac_f32_e32 v7, 0xbbbac73d, v6
	v_fmaak_f32 v7, v6, v7, 0xbd5c1c4e
	v_fmaak_f32 v7, v6, v7, 0x3e088382
	;; [unrolled: 1-line block ×3, first 2 shown]
	v_mul_f32_e64 v7, |v2|, v7
	v_fma_f32 v66, v6, v7, |v2|
; %bb.4:                                ; %__ocml_tanh_f32.exit
	.loc	1 0 23 is_stmt 0                ; geglu_aot.py:0:23
	s_or_b64 exec, exec, s[2:3]
	s_mov_b32 s2, 0x3f200000
	.loc	1 53 23                         ; geglu_aot.py:53:23
	v_cmp_nlt_f32_e64 s[2:3], |v3|, s2
                                        ; implicit-def: $vgpr67
	s_and_saveexec_b64 s[6:7], s[2:3]
	s_xor_b64 s[2:3], exec, s[6:7]
	s_cbranch_execz .LBB0_6
; %bb.5:
	v_add_f32_e64 v6, |v3|, |v3|
	s_mov_b32 s6, 0x3fb8aa3b
	v_mul_f32_e32 v7, 0x3fb8aa3b, v6
	v_fma_f32 v10, v6, s6, -v7
	v_rndne_f32_e32 v7, v7
	v_fmamk_f32 v10, v6, 0x32a5705f, v10
	v_fma_f32 v11, v6, s6, -v7
	v_add_f32_e32 v10, v11, v10
	v_exp_f32_e32 v10, v10
	v_cvt_i32_f32_e32 v7, v7
	s_mov_b32 s6, 0xc2ce8ed0
	v_cmp_ngt_f32_e32 vcc, s6, v6
	s_mov_b32 s6, 0x42b17218
	v_ldexp_f32 v7, v10, v7
	v_cndmask_b32_e32 v7, 0, v7, vcc
	v_mov_b32_e32 v10, 0x7f800000
	v_cmp_nlt_f32_e32 vcc, s6, v6
	s_nop 1
	v_cndmask_b32_e32 v6, v10, v7, vcc
	v_add_f32_e32 v6, 1.0, v6
	v_rcp_f32_e32 v6, v6
	s_nop 0
	v_fma_f32 v67, v6, -2.0, 1.0
.LBB0_6:                                ; %Flow14
	.loc	1 0 23                          ; geglu_aot.py:0:23
	s_andn2_saveexec_b64 s[2:3], s[2:3]
; %bb.7:
	.loc	1 53 23 is_stmt 1               ; geglu_aot.py:53:23
	v_mul_f32_e32 v6, v3, v3
	v_mov_b32_e32 v7, 0x3ca908c9
	v_fmac_f32_e32 v7, 0xbbbac73d, v6
	v_fmaak_f32 v7, v6, v7, 0xbd5c1c4e
	v_fmaak_f32 v7, v6, v7, 0x3e088382
	v_fmaak_f32 v7, v6, v7, 0xbeaaaa99
	v_mul_f32_e64 v7, |v3|, v7
	v_fma_f32 v67, v6, v7, |v3|
; %bb.8:                                ; %__ocml_tanh_f32.exit63
	.loc	1 0 23 is_stmt 0                ; geglu_aot.py:0:23
	s_or_b64 exec, exec, s[2:3]
	.loc	1 46 60 is_stmt 1               ; geglu_aot.py:46:60
	s_waitcnt vmcnt(12)
	v_cvt_f32_f16_e32 v5, v5
	v_cvt_f32_f16_e32 v4, v4
	s_mov_b32 s2, 0x3d372713
	s_mov_b32 s6, 0x3f4c422a
                                        ; implicit-def: $vgpr68
	.loc	1 51 22                         ; geglu_aot.py:51:22
	v_pk_mul_f32 v[6:7], v[4:5], v[4:5]
	.loc	1 51 30 is_stmt 0               ; geglu_aot.py:51:30
	s_nop 0
	v_pk_mul_f32 v[6:7], v[6:7], v[4:5]
	.loc	1 52 41 is_stmt 1               ; geglu_aot.py:52:41
	s_nop 0
	v_pk_fma_f32 v[6:7], v[6:7], s[2:3], v[4:5] op_sel_hi:[1,0,1]
	s_mov_b32 s2, 0x3f200000
	.loc	1 52 33 is_stmt 0               ; geglu_aot.py:52:33
	v_pk_mul_f32 v[6:7], v[6:7], s[6:7] op_sel_hi:[1,0]
	.loc	1 53 23 is_stmt 1               ; geglu_aot.py:53:23
	s_nop 0
	v_cmp_nlt_f32_e64 s[2:3], |v6|, s2
	s_and_saveexec_b64 s[6:7], s[2:3]
	s_xor_b64 s[2:3], exec, s[6:7]
	s_cbranch_execz .LBB0_10
; %bb.9:
	v_add_f32_e64 v10, |v6|, |v6|
	s_mov_b32 s6, 0x3fb8aa3b
	v_mul_f32_e32 v11, 0x3fb8aa3b, v10
	v_fma_f32 v16, v10, s6, -v11
	v_rndne_f32_e32 v11, v11
	v_fmamk_f32 v16, v10, 0x32a5705f, v16
	v_fma_f32 v17, v10, s6, -v11
	v_add_f32_e32 v16, v17, v16
	v_exp_f32_e32 v16, v16
	v_cvt_i32_f32_e32 v11, v11
	s_mov_b32 s6, 0xc2ce8ed0
	v_cmp_ngt_f32_e32 vcc, s6, v10
	s_mov_b32 s6, 0x42b17218
	v_ldexp_f32 v11, v16, v11
	v_cndmask_b32_e32 v11, 0, v11, vcc
	v_mov_b32_e32 v16, 0x7f800000
	v_cmp_nlt_f32_e32 vcc, s6, v10
	s_nop 1
	v_cndmask_b32_e32 v10, v16, v11, vcc
	v_add_f32_e32 v10, 1.0, v10
	v_rcp_f32_e32 v10, v10
	s_nop 0
	v_fma_f32 v68, v10, -2.0, 1.0
.LBB0_10:                               ; %Flow13
	.loc	1 0 23 is_stmt 0                ; geglu_aot.py:0:23
	s_andn2_saveexec_b64 s[2:3], s[2:3]
; %bb.11:
	.loc	1 53 23 is_stmt 1               ; geglu_aot.py:53:23
	v_mul_f32_e32 v10, v6, v6
	v_mov_b32_e32 v11, 0x3ca908c9
	v_fmac_f32_e32 v11, 0xbbbac73d, v10
	v_fmaak_f32 v11, v10, v11, 0xbd5c1c4e
	v_fmaak_f32 v11, v10, v11, 0x3e088382
	v_fmaak_f32 v11, v10, v11, 0xbeaaaa99
	v_mul_f32_e64 v11, |v6|, v11
	v_fma_f32 v68, v10, v11, |v6|
; %bb.12:                               ; %__ocml_tanh_f32.exit64
	.loc	1 0 23 is_stmt 0                ; geglu_aot.py:0:23
	s_or_b64 exec, exec, s[2:3]
	s_mov_b32 s2, 0x3f200000
	.loc	1 53 23                         ; geglu_aot.py:53:23
	v_cmp_nlt_f32_e64 s[2:3], |v7|, s2
                                        ; implicit-def: $vgpr69
	s_and_saveexec_b64 s[6:7], s[2:3]
	s_xor_b64 s[2:3], exec, s[6:7]
	s_cbranch_execz .LBB0_14
; %bb.13:
	v_add_f32_e64 v10, |v7|, |v7|
	s_mov_b32 s6, 0x3fb8aa3b
	v_mul_f32_e32 v11, 0x3fb8aa3b, v10
	v_fma_f32 v16, v10, s6, -v11
	v_rndne_f32_e32 v11, v11
	v_fmamk_f32 v16, v10, 0x32a5705f, v16
	v_fma_f32 v17, v10, s6, -v11
	v_add_f32_e32 v16, v17, v16
	v_exp_f32_e32 v16, v16
	v_cvt_i32_f32_e32 v11, v11
	s_mov_b32 s6, 0xc2ce8ed0
	v_cmp_ngt_f32_e32 vcc, s6, v10
	s_mov_b32 s6, 0x42b17218
	v_ldexp_f32 v11, v16, v11
	v_cndmask_b32_e32 v11, 0, v11, vcc
	v_mov_b32_e32 v16, 0x7f800000
	v_cmp_nlt_f32_e32 vcc, s6, v10
	s_nop 1
	v_cndmask_b32_e32 v10, v16, v11, vcc
	v_add_f32_e32 v10, 1.0, v10
	v_rcp_f32_e32 v10, v10
	s_nop 0
	v_fma_f32 v69, v10, -2.0, 1.0
.LBB0_14:                               ; %Flow12
	.loc	1 0 23                          ; geglu_aot.py:0:23
	s_andn2_saveexec_b64 s[2:3], s[2:3]
; %bb.15:
	.loc	1 53 23 is_stmt 1               ; geglu_aot.py:53:23
	v_mul_f32_e32 v10, v7, v7
	v_mov_b32_e32 v11, 0x3ca908c9
	v_fmac_f32_e32 v11, 0xbbbac73d, v10
	v_fmaak_f32 v11, v10, v11, 0xbd5c1c4e
	v_fmaak_f32 v11, v10, v11, 0x3e088382
	;; [unrolled: 1-line block ×3, first 2 shown]
	v_mul_f32_e64 v11, |v7|, v11
	v_fma_f32 v69, v10, v11, |v7|
; %bb.16:                               ; %__ocml_tanh_f32.exit65
	.loc	1 0 23 is_stmt 0                ; geglu_aot.py:0:23
	s_or_b64 exec, exec, s[2:3]
	.loc	1 46 60 is_stmt 1               ; geglu_aot.py:46:60
	s_waitcnt vmcnt(10)
	v_cvt_f32_f16_e32 v9, v9
	v_cvt_f32_f16_e32 v8, v8
	s_mov_b32 s2, 0x3d372713
	s_mov_b32 s6, 0x3f4c422a
                                        ; implicit-def: $vgpr70
	.loc	1 51 22                         ; geglu_aot.py:51:22
	v_pk_mul_f32 v[10:11], v[8:9], v[8:9]
	.loc	1 51 30 is_stmt 0               ; geglu_aot.py:51:30
	s_nop 0
	v_pk_mul_f32 v[10:11], v[10:11], v[8:9]
	.loc	1 52 41 is_stmt 1               ; geglu_aot.py:52:41
	s_nop 0
	v_pk_fma_f32 v[10:11], v[10:11], s[2:3], v[8:9] op_sel_hi:[1,0,1]
	s_mov_b32 s2, 0x3f200000
	.loc	1 52 33 is_stmt 0               ; geglu_aot.py:52:33
	v_pk_mul_f32 v[10:11], v[10:11], s[6:7] op_sel_hi:[1,0]
	.loc	1 53 23 is_stmt 1               ; geglu_aot.py:53:23
	s_nop 0
	v_cmp_nlt_f32_e64 s[2:3], |v10|, s2
	s_and_saveexec_b64 s[6:7], s[2:3]
	s_xor_b64 s[2:3], exec, s[6:7]
	s_cbranch_execz .LBB0_18
; %bb.17:
	v_add_f32_e64 v16, |v10|, |v10|
	s_mov_b32 s6, 0x3fb8aa3b
	v_mul_f32_e32 v17, 0x3fb8aa3b, v16
	v_fma_f32 v20, v16, s6, -v17
	v_rndne_f32_e32 v17, v17
	v_fmamk_f32 v20, v16, 0x32a5705f, v20
	v_fma_f32 v21, v16, s6, -v17
	v_add_f32_e32 v20, v21, v20
	v_exp_f32_e32 v20, v20
	v_cvt_i32_f32_e32 v17, v17
	s_mov_b32 s6, 0xc2ce8ed0
	v_cmp_ngt_f32_e32 vcc, s6, v16
	s_mov_b32 s6, 0x42b17218
	v_ldexp_f32 v17, v20, v17
	v_cndmask_b32_e32 v17, 0, v17, vcc
	v_mov_b32_e32 v20, 0x7f800000
	v_cmp_nlt_f32_e32 vcc, s6, v16
	s_nop 1
	v_cndmask_b32_e32 v16, v20, v17, vcc
	v_add_f32_e32 v16, 1.0, v16
	v_rcp_f32_e32 v16, v16
	s_nop 0
	v_fma_f32 v70, v16, -2.0, 1.0
.LBB0_18:                               ; %Flow11
	.loc	1 0 23 is_stmt 0                ; geglu_aot.py:0:23
	s_andn2_saveexec_b64 s[2:3], s[2:3]
; %bb.19:
	.loc	1 53 23 is_stmt 1               ; geglu_aot.py:53:23
	v_mul_f32_e32 v16, v10, v10
	v_mov_b32_e32 v17, 0x3ca908c9
	v_fmac_f32_e32 v17, 0xbbbac73d, v16
	v_fmaak_f32 v17, v16, v17, 0xbd5c1c4e
	v_fmaak_f32 v17, v16, v17, 0x3e088382
	;; [unrolled: 1-line block ×3, first 2 shown]
	v_mul_f32_e64 v17, |v10|, v17
	v_fma_f32 v70, v16, v17, |v10|
; %bb.20:                               ; %__ocml_tanh_f32.exit66
	.loc	1 0 23 is_stmt 0                ; geglu_aot.py:0:23
	s_or_b64 exec, exec, s[2:3]
	s_mov_b32 s2, 0x3f200000
	.loc	1 53 23                         ; geglu_aot.py:53:23
	v_cmp_nlt_f32_e64 s[2:3], |v11|, s2
                                        ; implicit-def: $vgpr71
	s_and_saveexec_b64 s[6:7], s[2:3]
	s_xor_b64 s[2:3], exec, s[6:7]
	s_cbranch_execz .LBB0_22
; %bb.21:
	v_add_f32_e64 v16, |v11|, |v11|
	s_mov_b32 s6, 0x3fb8aa3b
	v_mul_f32_e32 v17, 0x3fb8aa3b, v16
	v_fma_f32 v20, v16, s6, -v17
	v_rndne_f32_e32 v17, v17
	v_fmamk_f32 v20, v16, 0x32a5705f, v20
	v_fma_f32 v21, v16, s6, -v17
	v_add_f32_e32 v20, v21, v20
	v_exp_f32_e32 v20, v20
	v_cvt_i32_f32_e32 v17, v17
	s_mov_b32 s6, 0xc2ce8ed0
	v_cmp_ngt_f32_e32 vcc, s6, v16
	s_mov_b32 s6, 0x42b17218
	v_ldexp_f32 v17, v20, v17
	v_cndmask_b32_e32 v17, 0, v17, vcc
	v_mov_b32_e32 v20, 0x7f800000
	v_cmp_nlt_f32_e32 vcc, s6, v16
	s_nop 1
	v_cndmask_b32_e32 v16, v20, v17, vcc
	v_add_f32_e32 v16, 1.0, v16
	v_rcp_f32_e32 v16, v16
	s_nop 0
	v_fma_f32 v71, v16, -2.0, 1.0
.LBB0_22:                               ; %Flow10
	.loc	1 0 23                          ; geglu_aot.py:0:23
	s_andn2_saveexec_b64 s[2:3], s[2:3]
; %bb.23:
	.loc	1 53 23 is_stmt 1               ; geglu_aot.py:53:23
	v_mul_f32_e32 v16, v11, v11
	v_mov_b32_e32 v17, 0x3ca908c9
	v_fmac_f32_e32 v17, 0xbbbac73d, v16
	v_fmaak_f32 v17, v16, v17, 0xbd5c1c4e
	v_fmaak_f32 v17, v16, v17, 0x3e088382
	;; [unrolled: 1-line block ×3, first 2 shown]
	v_mul_f32_e64 v17, |v11|, v17
	v_fma_f32 v71, v16, v17, |v11|
; %bb.24:                               ; %__ocml_tanh_f32.exit67
	.loc	1 0 23 is_stmt 0                ; geglu_aot.py:0:23
	s_or_b64 exec, exec, s[2:3]
	.loc	1 46 60 is_stmt 1               ; geglu_aot.py:46:60
	s_waitcnt vmcnt(8)
	v_cvt_f32_f16_e32 v13, v13
	v_cvt_f32_f16_e32 v12, v12
	s_mov_b32 s2, 0x3d372713
	s_mov_b32 s6, 0x3f4c422a
                                        ; implicit-def: $vgpr72
	.loc	1 51 22                         ; geglu_aot.py:51:22
	v_pk_mul_f32 v[16:17], v[12:13], v[12:13]
	.loc	1 51 30 is_stmt 0               ; geglu_aot.py:51:30
	s_nop 0
	v_pk_mul_f32 v[16:17], v[16:17], v[12:13]
	.loc	1 52 41 is_stmt 1               ; geglu_aot.py:52:41
	s_nop 0
	v_pk_fma_f32 v[16:17], v[16:17], s[2:3], v[12:13] op_sel_hi:[1,0,1]
	s_mov_b32 s2, 0x3f200000
	.loc	1 52 33 is_stmt 0               ; geglu_aot.py:52:33
	v_pk_mul_f32 v[16:17], v[16:17], s[6:7] op_sel_hi:[1,0]
	.loc	1 53 23 is_stmt 1               ; geglu_aot.py:53:23
	s_nop 0
	v_cmp_nlt_f32_e64 s[2:3], |v16|, s2
	s_and_saveexec_b64 s[6:7], s[2:3]
	s_xor_b64 s[2:3], exec, s[6:7]
	s_cbranch_execz .LBB0_26
; %bb.25:
	v_add_f32_e64 v20, |v16|, |v16|
	s_mov_b32 s6, 0x3fb8aa3b
	v_mul_f32_e32 v21, 0x3fb8aa3b, v20
	v_fma_f32 v24, v20, s6, -v21
	v_rndne_f32_e32 v21, v21
	v_fmamk_f32 v24, v20, 0x32a5705f, v24
	v_fma_f32 v25, v20, s6, -v21
	v_add_f32_e32 v24, v25, v24
	v_exp_f32_e32 v24, v24
	v_cvt_i32_f32_e32 v21, v21
	s_mov_b32 s6, 0xc2ce8ed0
	v_cmp_ngt_f32_e32 vcc, s6, v20
	s_mov_b32 s6, 0x42b17218
	v_ldexp_f32 v21, v24, v21
	v_cndmask_b32_e32 v21, 0, v21, vcc
	v_mov_b32_e32 v24, 0x7f800000
	v_cmp_nlt_f32_e32 vcc, s6, v20
	s_nop 1
	v_cndmask_b32_e32 v20, v24, v21, vcc
	v_add_f32_e32 v20, 1.0, v20
	v_rcp_f32_e32 v20, v20
	s_nop 0
	v_fma_f32 v72, v20, -2.0, 1.0
.LBB0_26:                               ; %Flow9
	.loc	1 0 23 is_stmt 0                ; geglu_aot.py:0:23
	s_andn2_saveexec_b64 s[2:3], s[2:3]
; %bb.27:
	.loc	1 53 23 is_stmt 1               ; geglu_aot.py:53:23
	v_mul_f32_e32 v20, v16, v16
	v_mov_b32_e32 v21, 0x3ca908c9
	v_fmac_f32_e32 v21, 0xbbbac73d, v20
	v_fmaak_f32 v21, v20, v21, 0xbd5c1c4e
	v_fmaak_f32 v21, v20, v21, 0x3e088382
	;; [unrolled: 1-line block ×3, first 2 shown]
	v_mul_f32_e64 v21, |v16|, v21
	v_fma_f32 v72, v20, v21, |v16|
; %bb.28:                               ; %__ocml_tanh_f32.exit68
	.loc	1 0 23 is_stmt 0                ; geglu_aot.py:0:23
	s_or_b64 exec, exec, s[2:3]
	s_mov_b32 s2, 0x3f200000
	.loc	1 53 23                         ; geglu_aot.py:53:23
	v_cmp_nlt_f32_e64 s[2:3], |v17|, s2
                                        ; implicit-def: $vgpr73
	s_and_saveexec_b64 s[6:7], s[2:3]
	s_xor_b64 s[2:3], exec, s[6:7]
	s_cbranch_execz .LBB0_30
; %bb.29:
	v_add_f32_e64 v20, |v17|, |v17|
	s_mov_b32 s6, 0x3fb8aa3b
	v_mul_f32_e32 v21, 0x3fb8aa3b, v20
	v_fma_f32 v24, v20, s6, -v21
	v_rndne_f32_e32 v21, v21
	v_fmamk_f32 v24, v20, 0x32a5705f, v24
	v_fma_f32 v25, v20, s6, -v21
	v_add_f32_e32 v24, v25, v24
	v_exp_f32_e32 v24, v24
	v_cvt_i32_f32_e32 v21, v21
	s_mov_b32 s6, 0xc2ce8ed0
	v_cmp_ngt_f32_e32 vcc, s6, v20
	s_mov_b32 s6, 0x42b17218
	v_ldexp_f32 v21, v24, v21
	v_cndmask_b32_e32 v21, 0, v21, vcc
	v_mov_b32_e32 v24, 0x7f800000
	v_cmp_nlt_f32_e32 vcc, s6, v20
	s_nop 1
	v_cndmask_b32_e32 v20, v24, v21, vcc
	v_add_f32_e32 v20, 1.0, v20
	v_rcp_f32_e32 v20, v20
	s_nop 0
	v_fma_f32 v73, v20, -2.0, 1.0
.LBB0_30:                               ; %Flow8
	.loc	1 0 23                          ; geglu_aot.py:0:23
	s_andn2_saveexec_b64 s[2:3], s[2:3]
; %bb.31:
	.loc	1 53 23 is_stmt 1               ; geglu_aot.py:53:23
	v_mul_f32_e32 v20, v17, v17
	v_mov_b32_e32 v21, 0x3ca908c9
	v_fmac_f32_e32 v21, 0xbbbac73d, v20
	v_fmaak_f32 v21, v20, v21, 0xbd5c1c4e
	v_fmaak_f32 v21, v20, v21, 0x3e088382
	;; [unrolled: 1-line block ×3, first 2 shown]
	v_mul_f32_e64 v21, |v17|, v21
	v_fma_f32 v73, v20, v21, |v17|
; %bb.32:                               ; %__ocml_tanh_f32.exit69
	.loc	1 0 23 is_stmt 0                ; geglu_aot.py:0:23
	s_or_b64 exec, exec, s[2:3]
	.loc	1 46 60 is_stmt 1               ; geglu_aot.py:46:60
	s_waitcnt vmcnt(6)
	v_cvt_f32_f16_e32 v15, v15
	v_cvt_f32_f16_e32 v14, v14
	s_mov_b32 s2, 0x3d372713
	s_mov_b32 s6, 0x3f4c422a
                                        ; implicit-def: $vgpr74
	.loc	1 51 22                         ; geglu_aot.py:51:22
	v_pk_mul_f32 v[20:21], v[14:15], v[14:15]
	.loc	1 51 30 is_stmt 0               ; geglu_aot.py:51:30
	s_nop 0
	v_pk_mul_f32 v[20:21], v[20:21], v[14:15]
	.loc	1 52 41 is_stmt 1               ; geglu_aot.py:52:41
	s_nop 0
	v_pk_fma_f32 v[20:21], v[20:21], s[2:3], v[14:15] op_sel_hi:[1,0,1]
	s_mov_b32 s2, 0x3f200000
	.loc	1 52 33 is_stmt 0               ; geglu_aot.py:52:33
	v_pk_mul_f32 v[20:21], v[20:21], s[6:7] op_sel_hi:[1,0]
	.loc	1 53 23 is_stmt 1               ; geglu_aot.py:53:23
	s_nop 0
	v_cmp_nlt_f32_e64 s[2:3], |v20|, s2
	s_and_saveexec_b64 s[6:7], s[2:3]
	s_xor_b64 s[2:3], exec, s[6:7]
	s_cbranch_execz .LBB0_34
; %bb.33:
	v_add_f32_e64 v24, |v20|, |v20|
	s_mov_b32 s6, 0x3fb8aa3b
	v_mul_f32_e32 v25, 0x3fb8aa3b, v24
	v_fma_f32 v28, v24, s6, -v25
	v_rndne_f32_e32 v25, v25
	v_fmamk_f32 v28, v24, 0x32a5705f, v28
	v_fma_f32 v29, v24, s6, -v25
	v_add_f32_e32 v28, v29, v28
	v_exp_f32_e32 v28, v28
	v_cvt_i32_f32_e32 v25, v25
	s_mov_b32 s6, 0xc2ce8ed0
	v_cmp_ngt_f32_e32 vcc, s6, v24
	s_mov_b32 s6, 0x42b17218
	v_ldexp_f32 v25, v28, v25
	v_cndmask_b32_e32 v25, 0, v25, vcc
	v_mov_b32_e32 v28, 0x7f800000
	v_cmp_nlt_f32_e32 vcc, s6, v24
	s_nop 1
	v_cndmask_b32_e32 v24, v28, v25, vcc
	v_add_f32_e32 v24, 1.0, v24
	v_rcp_f32_e32 v24, v24
	s_nop 0
	v_fma_f32 v74, v24, -2.0, 1.0
.LBB0_34:                               ; %Flow7
	.loc	1 0 23 is_stmt 0                ; geglu_aot.py:0:23
	s_andn2_saveexec_b64 s[2:3], s[2:3]
; %bb.35:
	.loc	1 53 23 is_stmt 1               ; geglu_aot.py:53:23
	v_mul_f32_e32 v24, v20, v20
	v_mov_b32_e32 v25, 0x3ca908c9
	v_fmac_f32_e32 v25, 0xbbbac73d, v24
	v_fmaak_f32 v25, v24, v25, 0xbd5c1c4e
	v_fmaak_f32 v25, v24, v25, 0x3e088382
	v_fmaak_f32 v25, v24, v25, 0xbeaaaa99
	v_mul_f32_e64 v25, |v20|, v25
	v_fma_f32 v74, v24, v25, |v20|
; %bb.36:                               ; %__ocml_tanh_f32.exit70
	.loc	1 0 23 is_stmt 0                ; geglu_aot.py:0:23
	s_or_b64 exec, exec, s[2:3]
	s_mov_b32 s2, 0x3f200000
	.loc	1 53 23                         ; geglu_aot.py:53:23
	v_cmp_nlt_f32_e64 s[2:3], |v21|, s2
                                        ; implicit-def: $vgpr75
	s_and_saveexec_b64 s[6:7], s[2:3]
	s_xor_b64 s[2:3], exec, s[6:7]
	s_cbranch_execz .LBB0_38
; %bb.37:
	v_add_f32_e64 v24, |v21|, |v21|
	s_mov_b32 s6, 0x3fb8aa3b
	v_mul_f32_e32 v25, 0x3fb8aa3b, v24
	v_fma_f32 v28, v24, s6, -v25
	v_rndne_f32_e32 v25, v25
	v_fmamk_f32 v28, v24, 0x32a5705f, v28
	v_fma_f32 v29, v24, s6, -v25
	v_add_f32_e32 v28, v29, v28
	v_exp_f32_e32 v28, v28
	v_cvt_i32_f32_e32 v25, v25
	s_mov_b32 s6, 0xc2ce8ed0
	v_cmp_ngt_f32_e32 vcc, s6, v24
	s_mov_b32 s6, 0x42b17218
	v_ldexp_f32 v25, v28, v25
	v_cndmask_b32_e32 v25, 0, v25, vcc
	v_mov_b32_e32 v28, 0x7f800000
	v_cmp_nlt_f32_e32 vcc, s6, v24
	s_nop 1
	v_cndmask_b32_e32 v24, v28, v25, vcc
	v_add_f32_e32 v24, 1.0, v24
	v_rcp_f32_e32 v24, v24
	s_nop 0
	v_fma_f32 v75, v24, -2.0, 1.0
.LBB0_38:                               ; %Flow6
	.loc	1 0 23                          ; geglu_aot.py:0:23
	s_andn2_saveexec_b64 s[2:3], s[2:3]
; %bb.39:
	.loc	1 53 23 is_stmt 1               ; geglu_aot.py:53:23
	v_mul_f32_e32 v24, v21, v21
	v_mov_b32_e32 v25, 0x3ca908c9
	v_fmac_f32_e32 v25, 0xbbbac73d, v24
	v_fmaak_f32 v25, v24, v25, 0xbd5c1c4e
	v_fmaak_f32 v25, v24, v25, 0x3e088382
	;; [unrolled: 1-line block ×3, first 2 shown]
	v_mul_f32_e64 v25, |v21|, v25
	v_fma_f32 v75, v24, v25, |v21|
; %bb.40:                               ; %__ocml_tanh_f32.exit71
	.loc	1 0 23 is_stmt 0                ; geglu_aot.py:0:23
	s_or_b64 exec, exec, s[2:3]
	.loc	1 46 60 is_stmt 1               ; geglu_aot.py:46:60
	s_waitcnt vmcnt(4)
	v_cvt_f32_f16_e32 v19, v19
	v_cvt_f32_f16_e32 v18, v18
	s_mov_b32 s2, 0x3d372713
	s_mov_b32 s6, 0x3f4c422a
                                        ; implicit-def: $vgpr76
	.loc	1 51 22                         ; geglu_aot.py:51:22
	v_pk_mul_f32 v[24:25], v[18:19], v[18:19]
	.loc	1 51 30 is_stmt 0               ; geglu_aot.py:51:30
	s_nop 0
	v_pk_mul_f32 v[24:25], v[24:25], v[18:19]
	.loc	1 52 41 is_stmt 1               ; geglu_aot.py:52:41
	s_nop 0
	v_pk_fma_f32 v[24:25], v[24:25], s[2:3], v[18:19] op_sel_hi:[1,0,1]
	s_mov_b32 s2, 0x3f200000
	.loc	1 52 33 is_stmt 0               ; geglu_aot.py:52:33
	v_pk_mul_f32 v[24:25], v[24:25], s[6:7] op_sel_hi:[1,0]
	.loc	1 53 23 is_stmt 1               ; geglu_aot.py:53:23
	s_nop 0
	v_cmp_nlt_f32_e64 s[2:3], |v24|, s2
	s_and_saveexec_b64 s[6:7], s[2:3]
	s_xor_b64 s[2:3], exec, s[6:7]
	s_cbranch_execz .LBB0_42
; %bb.41:
	v_add_f32_e64 v28, |v24|, |v24|
	s_mov_b32 s6, 0x3fb8aa3b
	v_mul_f32_e32 v29, 0x3fb8aa3b, v28
	v_fma_f32 v30, v28, s6, -v29
	v_rndne_f32_e32 v29, v29
	v_fmamk_f32 v30, v28, 0x32a5705f, v30
	v_fma_f32 v31, v28, s6, -v29
	v_add_f32_e32 v30, v31, v30
	v_exp_f32_e32 v30, v30
	v_cvt_i32_f32_e32 v29, v29
	s_mov_b32 s6, 0xc2ce8ed0
	v_cmp_ngt_f32_e32 vcc, s6, v28
	s_mov_b32 s6, 0x42b17218
	v_ldexp_f32 v29, v30, v29
	v_cndmask_b32_e32 v29, 0, v29, vcc
	v_mov_b32_e32 v30, 0x7f800000
	v_cmp_nlt_f32_e32 vcc, s6, v28
	s_nop 1
	v_cndmask_b32_e32 v28, v30, v29, vcc
	v_add_f32_e32 v28, 1.0, v28
	v_rcp_f32_e32 v28, v28
	s_nop 0
	v_fma_f32 v76, v28, -2.0, 1.0
.LBB0_42:                               ; %Flow5
	.loc	1 0 23 is_stmt 0                ; geglu_aot.py:0:23
	s_andn2_saveexec_b64 s[2:3], s[2:3]
; %bb.43:
	.loc	1 53 23 is_stmt 1               ; geglu_aot.py:53:23
	v_mul_f32_e32 v28, v24, v24
	v_mov_b32_e32 v29, 0x3ca908c9
	v_fmac_f32_e32 v29, 0xbbbac73d, v28
	v_fmaak_f32 v29, v28, v29, 0xbd5c1c4e
	v_fmaak_f32 v29, v28, v29, 0x3e088382
	;; [unrolled: 1-line block ×3, first 2 shown]
	v_mul_f32_e64 v29, |v24|, v29
	v_fma_f32 v76, v28, v29, |v24|
; %bb.44:                               ; %__ocml_tanh_f32.exit72
	.loc	1 0 23 is_stmt 0                ; geglu_aot.py:0:23
	s_or_b64 exec, exec, s[2:3]
	s_mov_b32 s2, 0x3f200000
	.loc	1 53 23                         ; geglu_aot.py:53:23
	v_cmp_nlt_f32_e64 s[2:3], |v25|, s2
                                        ; implicit-def: $vgpr77
	s_and_saveexec_b64 s[6:7], s[2:3]
	s_xor_b64 s[2:3], exec, s[6:7]
	s_cbranch_execz .LBB0_46
; %bb.45:
	v_add_f32_e64 v28, |v25|, |v25|
	s_mov_b32 s6, 0x3fb8aa3b
	v_mul_f32_e32 v29, 0x3fb8aa3b, v28
	v_fma_f32 v30, v28, s6, -v29
	v_rndne_f32_e32 v29, v29
	v_fmamk_f32 v30, v28, 0x32a5705f, v30
	v_fma_f32 v31, v28, s6, -v29
	v_add_f32_e32 v30, v31, v30
	v_exp_f32_e32 v30, v30
	v_cvt_i32_f32_e32 v29, v29
	s_mov_b32 s6, 0xc2ce8ed0
	v_cmp_ngt_f32_e32 vcc, s6, v28
	s_mov_b32 s6, 0x42b17218
	v_ldexp_f32 v29, v30, v29
	v_cndmask_b32_e32 v29, 0, v29, vcc
	v_mov_b32_e32 v30, 0x7f800000
	v_cmp_nlt_f32_e32 vcc, s6, v28
	s_nop 1
	v_cndmask_b32_e32 v28, v30, v29, vcc
	v_add_f32_e32 v28, 1.0, v28
	v_rcp_f32_e32 v28, v28
	s_nop 0
	v_fma_f32 v77, v28, -2.0, 1.0
.LBB0_46:                               ; %Flow4
	.loc	1 0 23                          ; geglu_aot.py:0:23
	s_andn2_saveexec_b64 s[2:3], s[2:3]
; %bb.47:
	.loc	1 53 23 is_stmt 1               ; geglu_aot.py:53:23
	v_mul_f32_e32 v28, v25, v25
	v_mov_b32_e32 v29, 0x3ca908c9
	v_fmac_f32_e32 v29, 0xbbbac73d, v28
	v_fmaak_f32 v29, v28, v29, 0xbd5c1c4e
	v_fmaak_f32 v29, v28, v29, 0x3e088382
	;; [unrolled: 1-line block ×3, first 2 shown]
	v_mul_f32_e64 v29, |v25|, v29
	v_fma_f32 v77, v28, v29, |v25|
; %bb.48:                               ; %__ocml_tanh_f32.exit73
	.loc	1 0 23 is_stmt 0                ; geglu_aot.py:0:23
	s_or_b64 exec, exec, s[2:3]
	.loc	1 46 60 is_stmt 1               ; geglu_aot.py:46:60
	s_waitcnt vmcnt(2)
	v_cvt_f32_f16_e32 v23, v23
	v_cvt_f32_f16_e32 v22, v22
	s_mov_b32 s2, 0x3d372713
	s_mov_b32 s6, 0x3f4c422a
                                        ; implicit-def: $vgpr92
	.loc	1 51 22                         ; geglu_aot.py:51:22
	v_pk_mul_f32 v[28:29], v[22:23], v[22:23]
	.loc	1 51 30 is_stmt 0               ; geglu_aot.py:51:30
	s_nop 0
	v_pk_mul_f32 v[28:29], v[28:29], v[22:23]
	.loc	1 52 41 is_stmt 1               ; geglu_aot.py:52:41
	s_nop 0
	v_pk_fma_f32 v[28:29], v[28:29], s[2:3], v[22:23] op_sel_hi:[1,0,1]
	s_mov_b32 s2, 0x3f200000
	.loc	1 52 33 is_stmt 0               ; geglu_aot.py:52:33
	v_pk_mul_f32 v[28:29], v[28:29], s[6:7] op_sel_hi:[1,0]
	.loc	1 53 23 is_stmt 1               ; geglu_aot.py:53:23
	s_nop 0
	v_cmp_nlt_f32_e64 s[2:3], |v28|, s2
	s_and_saveexec_b64 s[6:7], s[2:3]
	s_xor_b64 s[2:3], exec, s[6:7]
	s_cbranch_execz .LBB0_50
; %bb.49:
	v_add_f32_e64 v30, |v28|, |v28|
	s_mov_b32 s6, 0x3fb8aa3b
	v_mul_f32_e32 v31, 0x3fb8aa3b, v30
	v_fma_f32 v78, v30, s6, -v31
	v_rndne_f32_e32 v31, v31
	v_fmamk_f32 v78, v30, 0x32a5705f, v78
	v_fma_f32 v79, v30, s6, -v31
	v_add_f32_e32 v78, v79, v78
	v_exp_f32_e32 v78, v78
	v_cvt_i32_f32_e32 v31, v31
	s_mov_b32 s6, 0xc2ce8ed0
	v_cmp_ngt_f32_e32 vcc, s6, v30
	s_mov_b32 s6, 0x42b17218
	v_ldexp_f32 v31, v78, v31
	v_cndmask_b32_e32 v31, 0, v31, vcc
	v_mov_b32_e32 v78, 0x7f800000
	v_cmp_nlt_f32_e32 vcc, s6, v30
	s_nop 1
	v_cndmask_b32_e32 v30, v78, v31, vcc
	v_add_f32_e32 v30, 1.0, v30
	v_rcp_f32_e32 v30, v30
	s_nop 0
	v_fma_f32 v92, v30, -2.0, 1.0
.LBB0_50:                               ; %Flow3
	.loc	1 0 23 is_stmt 0                ; geglu_aot.py:0:23
	s_andn2_saveexec_b64 s[2:3], s[2:3]
; %bb.51:
	.loc	1 53 23 is_stmt 1               ; geglu_aot.py:53:23
	v_mul_f32_e32 v30, v28, v28
	v_mov_b32_e32 v31, 0x3ca908c9
	v_fmac_f32_e32 v31, 0xbbbac73d, v30
	v_fmaak_f32 v31, v30, v31, 0xbd5c1c4e
	v_fmaak_f32 v31, v30, v31, 0x3e088382
	;; [unrolled: 1-line block ×3, first 2 shown]
	v_mul_f32_e64 v31, |v28|, v31
	v_fma_f32 v92, v30, v31, |v28|
; %bb.52:                               ; %__ocml_tanh_f32.exit74
	.loc	1 0 23 is_stmt 0                ; geglu_aot.py:0:23
	s_or_b64 exec, exec, s[2:3]
	s_mov_b32 s2, 0x3f200000
	.loc	1 53 23                         ; geglu_aot.py:53:23
	v_cmp_nlt_f32_e64 s[2:3], |v29|, s2
                                        ; implicit-def: $vgpr93
	s_and_saveexec_b64 s[6:7], s[2:3]
	s_xor_b64 s[2:3], exec, s[6:7]
	s_cbranch_execz .LBB0_54
; %bb.53:
	v_add_f32_e64 v30, |v29|, |v29|
	s_mov_b32 s6, 0x3fb8aa3b
	v_mul_f32_e32 v31, 0x3fb8aa3b, v30
	v_fma_f32 v78, v30, s6, -v31
	v_rndne_f32_e32 v31, v31
	v_fmamk_f32 v78, v30, 0x32a5705f, v78
	v_fma_f32 v79, v30, s6, -v31
	v_add_f32_e32 v78, v79, v78
	v_exp_f32_e32 v78, v78
	v_cvt_i32_f32_e32 v31, v31
	s_mov_b32 s6, 0xc2ce8ed0
	v_cmp_ngt_f32_e32 vcc, s6, v30
	s_mov_b32 s6, 0x42b17218
	v_ldexp_f32 v31, v78, v31
	v_cndmask_b32_e32 v31, 0, v31, vcc
	v_mov_b32_e32 v78, 0x7f800000
	v_cmp_nlt_f32_e32 vcc, s6, v30
	s_nop 1
	v_cndmask_b32_e32 v30, v78, v31, vcc
	v_add_f32_e32 v30, 1.0, v30
	v_rcp_f32_e32 v30, v30
	s_nop 0
	v_fma_f32 v93, v30, -2.0, 1.0
.LBB0_54:                               ; %Flow2
	.loc	1 0 23                          ; geglu_aot.py:0:23
	s_andn2_saveexec_b64 s[2:3], s[2:3]
; %bb.55:
	.loc	1 53 23 is_stmt 1               ; geglu_aot.py:53:23
	v_mul_f32_e32 v30, v29, v29
	v_mov_b32_e32 v31, 0x3ca908c9
	v_fmac_f32_e32 v31, 0xbbbac73d, v30
	v_fmaak_f32 v31, v30, v31, 0xbd5c1c4e
	v_fmaak_f32 v31, v30, v31, 0x3e088382
	;; [unrolled: 1-line block ×3, first 2 shown]
	v_mul_f32_e64 v31, |v29|, v31
	v_fma_f32 v93, v30, v31, |v29|
; %bb.56:                               ; %__ocml_tanh_f32.exit75
	.loc	1 0 23 is_stmt 0                ; geglu_aot.py:0:23
	s_or_b64 exec, exec, s[2:3]
	.loc	1 46 60 is_stmt 1               ; geglu_aot.py:46:60
	s_waitcnt vmcnt(0)
	v_cvt_f32_f16_e32 v27, v27
	v_cvt_f32_f16_e32 v26, v26
	s_mov_b32 s2, 0x3d372713
	s_mov_b32 s6, 0x3f4c422a
                                        ; implicit-def: $vgpr94
	.loc	1 51 22                         ; geglu_aot.py:51:22
	v_pk_mul_f32 v[30:31], v[26:27], v[26:27]
	.loc	1 51 30 is_stmt 0               ; geglu_aot.py:51:30
	s_nop 0
	v_pk_mul_f32 v[30:31], v[30:31], v[26:27]
	.loc	1 52 41 is_stmt 1               ; geglu_aot.py:52:41
	s_nop 0
	v_pk_fma_f32 v[30:31], v[30:31], s[2:3], v[26:27] op_sel_hi:[1,0,1]
	s_mov_b32 s2, 0x3f200000
	.loc	1 52 33 is_stmt 0               ; geglu_aot.py:52:33
	v_pk_mul_f32 v[30:31], v[30:31], s[6:7] op_sel_hi:[1,0]
	.loc	1 53 23 is_stmt 1               ; geglu_aot.py:53:23
	s_nop 0
	v_cmp_nlt_f32_e64 s[2:3], |v30|, s2
	s_and_saveexec_b64 s[6:7], s[2:3]
	s_xor_b64 s[2:3], exec, s[6:7]
	s_cbranch_execz .LBB0_58
; %bb.57:
	v_add_f32_e64 v78, |v30|, |v30|
	s_mov_b32 s6, 0x3fb8aa3b
	v_mul_f32_e32 v79, 0x3fb8aa3b, v78
	v_fma_f32 v80, v78, s6, -v79
	v_rndne_f32_e32 v79, v79
	v_fmamk_f32 v80, v78, 0x32a5705f, v80
	v_fma_f32 v81, v78, s6, -v79
	v_add_f32_e32 v80, v81, v80
	v_exp_f32_e32 v80, v80
	v_cvt_i32_f32_e32 v79, v79
	s_mov_b32 s6, 0xc2ce8ed0
	v_cmp_ngt_f32_e32 vcc, s6, v78
	s_mov_b32 s6, 0x42b17218
	v_ldexp_f32 v79, v80, v79
	v_cndmask_b32_e32 v79, 0, v79, vcc
	v_mov_b32_e32 v80, 0x7f800000
	v_cmp_nlt_f32_e32 vcc, s6, v78
	s_nop 1
	v_cndmask_b32_e32 v78, v80, v79, vcc
	v_add_f32_e32 v78, 1.0, v78
	v_rcp_f32_e32 v78, v78
	s_nop 0
	v_fma_f32 v94, v78, -2.0, 1.0
.LBB0_58:                               ; %Flow1
	.loc	1 0 23 is_stmt 0                ; geglu_aot.py:0:23
	s_andn2_saveexec_b64 s[2:3], s[2:3]
; %bb.59:
	.loc	1 53 23 is_stmt 1               ; geglu_aot.py:53:23
	v_mul_f32_e32 v78, v30, v30
	v_mov_b32_e32 v79, 0x3ca908c9
	v_fmac_f32_e32 v79, 0xbbbac73d, v78
	v_fmaak_f32 v79, v78, v79, 0xbd5c1c4e
	v_fmaak_f32 v79, v78, v79, 0x3e088382
	;; [unrolled: 1-line block ×3, first 2 shown]
	v_mul_f32_e64 v79, |v30|, v79
	v_fma_f32 v94, v78, v79, |v30|
; %bb.60:                               ; %__ocml_tanh_f32.exit76
	.loc	1 0 23 is_stmt 0                ; geglu_aot.py:0:23
	s_or_b64 exec, exec, s[2:3]
	s_mov_b32 s2, 0x3f200000
	.loc	1 53 23                         ; geglu_aot.py:53:23
	v_cmp_nlt_f32_e64 s[2:3], |v31|, s2
                                        ; implicit-def: $vgpr95
	s_and_saveexec_b64 s[6:7], s[2:3]
	s_xor_b64 s[2:3], exec, s[6:7]
	s_cbranch_execz .LBB0_62
; %bb.61:
	v_add_f32_e64 v78, |v31|, |v31|
	s_mov_b32 s6, 0x3fb8aa3b
	v_mul_f32_e32 v79, 0x3fb8aa3b, v78
	v_fma_f32 v80, v78, s6, -v79
	v_rndne_f32_e32 v79, v79
	v_fmamk_f32 v80, v78, 0x32a5705f, v80
	v_fma_f32 v81, v78, s6, -v79
	v_add_f32_e32 v80, v81, v80
	v_exp_f32_e32 v80, v80
	v_cvt_i32_f32_e32 v79, v79
	s_mov_b32 s6, 0xc2ce8ed0
	v_cmp_ngt_f32_e32 vcc, s6, v78
	s_mov_b32 s6, 0x42b17218
	v_ldexp_f32 v79, v80, v79
	v_cndmask_b32_e32 v79, 0, v79, vcc
	v_mov_b32_e32 v80, 0x7f800000
	v_cmp_nlt_f32_e32 vcc, s6, v78
	s_nop 1
	v_cndmask_b32_e32 v78, v80, v79, vcc
	v_add_f32_e32 v78, 1.0, v78
	v_rcp_f32_e32 v78, v78
	s_nop 0
	v_fma_f32 v95, v78, -2.0, 1.0
.LBB0_62:                               ; %Flow
	.loc	1 0 23                          ; geglu_aot.py:0:23
	s_or_saveexec_b64 s[2:3], s[2:3]
	v_or_b32_e32 v90, 0x200, v33
	v_or_b32_e32 v91, 0x400, v33
	;; [unrolled: 1-line block ×14, first 2 shown]
	s_xor_b64 exec, exec, s[2:3]
; %bb.63:
	.loc	1 53 23 is_stmt 1               ; geglu_aot.py:53:23
	v_mul_f32_e32 v95, v31, v31
	v_mov_b32_e32 v96, 0x3ca908c9
	v_fmac_f32_e32 v96, 0xbbbac73d, v95
	v_fmaak_f32 v96, v95, v96, 0xbd5c1c4e
	v_fmaak_f32 v96, v95, v96, 0x3e088382
	;; [unrolled: 1-line block ×3, first 2 shown]
	v_mul_f32_e64 v96, |v31|, v96
	v_fma_f32 v95, v95, v96, |v31|
; %bb.64:                               ; %__ocml_tanh_f32.exit77
	.loc	1 0 23 is_stmt 0                ; geglu_aot.py:0:23
	s_or_b64 exec, exec, s[2:3]
	.loc	1 53 23                         ; geglu_aot.py:53:23
	s_brev_b32 s2, -2
	v_bfi_b32 v3, s2, v67, v3
	v_bfi_b32 v2, s2, v66, v2
	.loc	1 45 21 is_stmt 1               ; geglu_aot.py:45:21
	s_mov_b32 s3, 0x5040100
	v_perm_b32 v114, v51, v48, s3
	.loc	1 47 20                         ; geglu_aot.py:47:20
	v_perm_b32 v115, v49, v50, s3
	.loc	1 54 20                         ; geglu_aot.py:54:20
	v_pk_mul_f32 v[50:51], v[0:1], 0.5 op_sel_hi:[1,0]
	.loc	1 54 33 is_stmt 0               ; geglu_aot.py:54:33
	v_pk_add_f32 v[96:97], v[2:3], 1.0 op_sel_hi:[1,0]
	.loc	1 53 23 is_stmt 1               ; geglu_aot.py:53:23
	v_bfi_b32 v31, s2, v95, v31
	v_bfi_b32 v30, s2, v94, v30
	;; [unrolled: 1-line block ×14, first 2 shown]
	s_mov_b32 s2, 0x3e095d4f
	.loc	1 54 29                         ; geglu_aot.py:54:29
	v_pk_mul_f32 v[98:99], v[50:51], v[96:97]
	.loc	1 64 80                         ; geglu_aot.py:64:80
	v_pk_mul_f32 v[66:67], v[0:1], s[2:3] op_sel_hi:[1,0]
	.loc	1 55 25                         ; geglu_aot.py:55:25
	v_cvt_pk_f16_f32 v98, v98, v99
	.loc	1 57 25                         ; geglu_aot.py:57:25
	v_perm_b32 v99, v49, v48, s3
	.loc	1 65 22                         ; geglu_aot.py:65:22
	v_pk_mul_f16 v49, v115, v114
	.loc	1 64 80                         ; geglu_aot.py:64:80
	v_pk_mul_f32 v[68:69], v[4:5], s[2:3] op_sel_hi:[1,0]
	v_pk_mul_f32 v[70:71], v[8:9], s[2:3] op_sel_hi:[1,0]
	;; [unrolled: 1-line block ×7, first 2 shown]
	.loc	1 64 31 is_stmt 0               ; geglu_aot.py:64:31
	v_pk_fma_f32 v[2:3], v[2:3], v[2:3], 1.0 op_sel_hi:[1,1,0] neg_lo:[1,0,0] neg_hi:[1,0,0]
	.loc	1 64 65                         ; geglu_aot.py:64:65
	v_pk_fma_f32 v[0:1], v[66:67], v[0:1], 1.0 op_sel_hi:[1,1,0]
	s_mov_b32 s2, 0x3f4c422a
	.loc	1 65 31 is_stmt 1               ; geglu_aot.py:65:31
	v_cvt_f32_f16_e32 v48, v49
	v_cvt_f32_f16_sdwa v49, v49 dst_sel:DWORD dst_unused:UNUSED_PAD src0_sel:WORD_1
	.loc	1 64 27                         ; geglu_aot.py:64:27
	v_pk_mul_f32 v[2:3], v[50:51], v[2:3]
	.loc	1 64 61 is_stmt 0               ; geglu_aot.py:64:61
	v_pk_mul_f32 v[0:1], v[0:1], s[2:3] op_sel_hi:[1,0]
	.loc	1 45 21 is_stmt 1               ; geglu_aot.py:45:21
	v_perm_b32 v112, v53, v46, s3
	.loc	1 64 43                         ; geglu_aot.py:64:43
	v_pk_mul_f32 v[0:1], v[0:1], v[2:3]
	.loc	1 47 20                         ; geglu_aot.py:47:20
	v_perm_b32 v113, v47, v52, s3
	.loc	1 54 20                         ; geglu_aot.py:54:20
	v_pk_mul_f32 v[52:53], v[4:5], 0.5 op_sel_hi:[1,0]
	.loc	1 65 39                         ; geglu_aot.py:65:39
	v_pk_fma_f32 v[0:1], v[96:97], 0.5, v[0:1] op_sel_hi:[1,0,1]
	.loc	1 54 33                         ; geglu_aot.py:54:33
	v_pk_add_f32 v[2:3], v[6:7], 1.0 op_sel_hi:[1,0]
	.loc	1 65 31                         ; geglu_aot.py:65:31
	v_pk_mul_f32 v[0:1], v[0:1], v[48:49]
	.loc	1 54 29                         ; geglu_aot.py:54:29
	v_pk_mul_f32 v[48:49], v[52:53], v[2:3]
	.loc	1 64 31                         ; geglu_aot.py:64:31
	v_pk_fma_f32 v[6:7], v[6:7], v[6:7], 1.0 op_sel_hi:[1,1,0] neg_lo:[1,0,0] neg_hi:[1,0,0]
	.loc	1 55 25                         ; geglu_aot.py:55:25
	v_cvt_pk_f16_f32 v48, v48, v49
	.loc	1 57 25                         ; geglu_aot.py:57:25
	v_perm_b32 v49, v47, v46, s3
	.loc	1 64 65                         ; geglu_aot.py:64:65
	v_pk_fma_f32 v[4:5], v[68:69], v[4:5], 1.0 op_sel_hi:[1,1,0]
	.loc	1 65 22                         ; geglu_aot.py:65:22
	v_pk_mul_f16 v47, v113, v112
	.loc	1 64 27                         ; geglu_aot.py:64:27
	v_pk_mul_f32 v[6:7], v[52:53], v[6:7]
	.loc	1 65 31                         ; geglu_aot.py:65:31
	v_cvt_f32_f16_e32 v46, v47
	v_cvt_f32_f16_sdwa v47, v47 dst_sel:DWORD dst_unused:UNUSED_PAD src0_sel:WORD_1
	.loc	1 64 61                         ; geglu_aot.py:64:61
	v_pk_mul_f32 v[4:5], v[4:5], s[2:3] op_sel_hi:[1,0]
	.loc	1 45 21                         ; geglu_aot.py:45:21
	v_perm_b32 v110, v55, v44, s3
	.loc	1 64 43                         ; geglu_aot.py:64:43
	v_pk_mul_f32 v[4:5], v[4:5], v[6:7]
	.loc	1 47 20                         ; geglu_aot.py:47:20
	v_perm_b32 v111, v45, v54, s3
	.loc	1 54 20                         ; geglu_aot.py:54:20
	v_pk_mul_f32 v[54:55], v[8:9], 0.5 op_sel_hi:[1,0]
	.loc	1 65 39                         ; geglu_aot.py:65:39
	v_pk_fma_f32 v[2:3], v[2:3], 0.5, v[4:5] op_sel_hi:[1,0,1]
	.loc	1 54 33                         ; geglu_aot.py:54:33
	v_pk_add_f32 v[4:5], v[10:11], 1.0 op_sel_hi:[1,0]
	.loc	1 65 31                         ; geglu_aot.py:65:31
	v_pk_mul_f32 v[2:3], v[2:3], v[46:47]
	.loc	1 54 29                         ; geglu_aot.py:54:29
	v_pk_mul_f32 v[6:7], v[54:55], v[4:5]
	.loc	1 64 65                         ; geglu_aot.py:64:65
	v_pk_fma_f32 v[8:9], v[70:71], v[8:9], 1.0 op_sel_hi:[1,1,0]
	.loc	1 55 25                         ; geglu_aot.py:55:25
	v_cvt_pk_f16_f32 v46, v6, v7
	.loc	1 64 31                         ; geglu_aot.py:64:31
	v_pk_fma_f32 v[6:7], v[10:11], v[10:11], 1.0 op_sel_hi:[1,1,0] neg_lo:[1,0,0] neg_hi:[1,0,0]
	.loc	1 65 22                         ; geglu_aot.py:65:22
	v_pk_mul_f16 v11, v111, v110
	.loc	1 64 27                         ; geglu_aot.py:64:27
	v_pk_mul_f32 v[6:7], v[54:55], v[6:7]
	.loc	1 65 31                         ; geglu_aot.py:65:31
	v_cvt_f32_f16_e32 v10, v11
	v_cvt_f32_f16_sdwa v11, v11 dst_sel:DWORD dst_unused:UNUSED_PAD src0_sel:WORD_1
	.loc	1 64 61                         ; geglu_aot.py:64:61
	v_pk_mul_f32 v[8:9], v[8:9], s[2:3] op_sel_hi:[1,0]
	.loc	1 45 21                         ; geglu_aot.py:45:21
	v_perm_b32 v108, v57, v42, s3
	.loc	1 64 43                         ; geglu_aot.py:64:43
	v_pk_mul_f32 v[6:7], v[8:9], v[6:7]
	.loc	1 47 20                         ; geglu_aot.py:47:20
	v_perm_b32 v109, v43, v56, s3
	.loc	1 54 20                         ; geglu_aot.py:54:20
	v_pk_mul_f32 v[56:57], v[12:13], 0.5 op_sel_hi:[1,0]
	.loc	1 65 39                         ; geglu_aot.py:65:39
	v_pk_fma_f32 v[4:5], v[4:5], 0.5, v[6:7] op_sel_hi:[1,0,1]
	.loc	1 54 33                         ; geglu_aot.py:54:33
	v_pk_add_f32 v[6:7], v[16:17], 1.0 op_sel_hi:[1,0]
	.loc	1 57 25                         ; geglu_aot.py:57:25
	v_perm_b32 v44, v45, v44, s3
	.loc	1 54 29                         ; geglu_aot.py:54:29
	v_pk_mul_f32 v[8:9], v[56:57], v[6:7]
	.loc	1 65 31                         ; geglu_aot.py:65:31
	v_pk_mul_f32 v[4:5], v[4:5], v[10:11]
	.loc	1 55 25                         ; geglu_aot.py:55:25
	v_cvt_pk_f16_f32 v45, v8, v9
	.loc	1 64 31                         ; geglu_aot.py:64:31
	v_pk_fma_f32 v[8:9], v[16:17], v[16:17], 1.0 op_sel_hi:[1,1,0] neg_lo:[1,0,0] neg_hi:[1,0,0]
	.loc	1 64 65 is_stmt 0               ; geglu_aot.py:64:65
	v_pk_fma_f32 v[10:11], v[72:73], v[12:13], 1.0 op_sel_hi:[1,1,0]
	.loc	1 65 22 is_stmt 1               ; geglu_aot.py:65:22
	v_pk_mul_f16 v13, v109, v108
	.loc	1 64 27                         ; geglu_aot.py:64:27
	v_pk_mul_f32 v[8:9], v[56:57], v[8:9]
	.loc	1 65 31                         ; geglu_aot.py:65:31
	v_cvt_f32_f16_e32 v12, v13
	v_cvt_f32_f16_sdwa v13, v13 dst_sel:DWORD dst_unused:UNUSED_PAD src0_sel:WORD_1
	.loc	1 64 61                         ; geglu_aot.py:64:61
	v_pk_mul_f32 v[10:11], v[10:11], s[2:3] op_sel_hi:[1,0]
	.loc	1 45 21                         ; geglu_aot.py:45:21
	v_perm_b32 v106, v59, v40, s3
	.loc	1 64 43                         ; geglu_aot.py:64:43
	v_pk_mul_f32 v[8:9], v[10:11], v[8:9]
	.loc	1 47 20                         ; geglu_aot.py:47:20
	v_perm_b32 v107, v41, v58, s3
	.loc	1 54 20                         ; geglu_aot.py:54:20
	v_pk_mul_f32 v[58:59], v[14:15], 0.5 op_sel_hi:[1,0]
	.loc	1 65 39                         ; geglu_aot.py:65:39
	v_pk_fma_f32 v[6:7], v[6:7], 0.5, v[8:9] op_sel_hi:[1,0,1]
	.loc	1 54 33                         ; geglu_aot.py:54:33
	v_pk_add_f32 v[8:9], v[20:21], 1.0 op_sel_hi:[1,0]
	.loc	1 57 25                         ; geglu_aot.py:57:25
	v_perm_b32 v42, v43, v42, s3
	.loc	1 54 29                         ; geglu_aot.py:54:29
	v_pk_mul_f32 v[10:11], v[58:59], v[8:9]
	.loc	1 65 31                         ; geglu_aot.py:65:31
	v_pk_mul_f32 v[6:7], v[6:7], v[12:13]
	.loc	1 55 25                         ; geglu_aot.py:55:25
	v_cvt_pk_f16_f32 v43, v10, v11
	.loc	1 64 31                         ; geglu_aot.py:64:31
	v_pk_fma_f32 v[10:11], v[20:21], v[20:21], 1.0 op_sel_hi:[1,1,0] neg_lo:[1,0,0] neg_hi:[1,0,0]
	.loc	1 64 65 is_stmt 0               ; geglu_aot.py:64:65
	v_pk_fma_f32 v[12:13], v[74:75], v[14:15], 1.0 op_sel_hi:[1,1,0]
	.loc	1 65 22 is_stmt 1               ; geglu_aot.py:65:22
	;; [unrolled: 33-line block ×3, first 2 shown]
	v_pk_mul_f16 v17, v105, v104
	.loc	1 64 27                         ; geglu_aot.py:64:27
	v_pk_mul_f32 v[12:13], v[60:61], v[12:13]
	.loc	1 65 31                         ; geglu_aot.py:65:31
	v_cvt_f32_f16_e32 v16, v17
	v_cvt_f32_f16_sdwa v17, v17 dst_sel:DWORD dst_unused:UNUSED_PAD src0_sel:WORD_1
	.loc	1 64 61                         ; geglu_aot.py:64:61
	v_pk_mul_f32 v[14:15], v[14:15], s[2:3] op_sel_hi:[1,0]
	.loc	1 45 21                         ; geglu_aot.py:45:21
	v_perm_b32 v102, v63, v36, s3
	.loc	1 64 43                         ; geglu_aot.py:64:43
	v_pk_mul_f32 v[12:13], v[14:15], v[12:13]
	.loc	1 47 20                         ; geglu_aot.py:47:20
	v_perm_b32 v103, v37, v62, s3
	.loc	1 54 20                         ; geglu_aot.py:54:20
	v_pk_mul_f32 v[62:63], v[22:23], 0.5 op_sel_hi:[1,0]
	.loc	1 65 39                         ; geglu_aot.py:65:39
	v_pk_fma_f32 v[10:11], v[10:11], 0.5, v[12:13] op_sel_hi:[1,0,1]
	.loc	1 54 33                         ; geglu_aot.py:54:33
	v_pk_add_f32 v[12:13], v[28:29], 1.0 op_sel_hi:[1,0]
	.loc	1 65 31                         ; geglu_aot.py:65:31
	v_pk_mul_f32 v[10:11], v[10:11], v[16:17]
	.loc	1 54 29                         ; geglu_aot.py:54:29
	v_pk_mul_f32 v[14:15], v[62:63], v[12:13]
	.loc	1 64 65                         ; geglu_aot.py:64:65
	v_pk_fma_f32 v[16:17], v[92:93], v[22:23], 1.0 op_sel_hi:[1,1,0]
	.loc	1 55 25                         ; geglu_aot.py:55:25
	v_cvt_pk_f16_f32 v24, v14, v15
	.loc	1 64 31                         ; geglu_aot.py:64:31
	v_pk_fma_f32 v[14:15], v[28:29], v[28:29], 1.0 op_sel_hi:[1,1,0] neg_lo:[1,0,0] neg_hi:[1,0,0]
	.loc	1 65 22                         ; geglu_aot.py:65:22
	v_pk_mul_f16 v19, v103, v102
	.loc	1 64 27                         ; geglu_aot.py:64:27
	v_pk_mul_f32 v[14:15], v[62:63], v[14:15]
	.loc	1 65 31                         ; geglu_aot.py:65:31
	v_cvt_f32_f16_e32 v18, v19
	v_cvt_f32_f16_sdwa v19, v19 dst_sel:DWORD dst_unused:UNUSED_PAD src0_sel:WORD_1
	.loc	1 64 61                         ; geglu_aot.py:64:61
	v_pk_mul_f32 v[16:17], v[16:17], s[2:3] op_sel_hi:[1,0]
	.loc	1 45 21                         ; geglu_aot.py:45:21
	v_perm_b32 v100, v65, v34, s3
	.loc	1 64 43                         ; geglu_aot.py:64:43
	v_pk_mul_f32 v[14:15], v[16:17], v[14:15]
	.loc	1 47 20                         ; geglu_aot.py:47:20
	v_perm_b32 v101, v35, v64, s3
	.loc	1 54 20                         ; geglu_aot.py:54:20
	v_pk_mul_f32 v[64:65], v[26:27], 0.5 op_sel_hi:[1,0]
	.loc	1 65 39                         ; geglu_aot.py:65:39
	v_pk_fma_f32 v[12:13], v[12:13], 0.5, v[14:15] op_sel_hi:[1,0,1]
	.loc	1 54 33                         ; geglu_aot.py:54:33
	v_pk_add_f32 v[14:15], v[30:31], 1.0 op_sel_hi:[1,0]
	.loc	1 67 30                         ; geglu_aot.py:67:30
	v_cvt_pk_f16_f32 v0, v0, v1
	s_mov_b32 s6, s10
	s_mov_b32 s7, s11
	.loc	1 54 29                         ; geglu_aot.py:54:29
	v_pk_mul_f32 v[16:17], v[64:65], v[14:15]
	.loc	1 65 22                         ; geglu_aot.py:65:22
	v_pk_mul_f16 v21, v101, v100
	.loc	1 67 30                         ; geglu_aot.py:67:30
	v_cvt_pk_f16_f32 v1, v2, v3
	buffer_store_short v0, v33, s[4:7], 0 offen
	v_lshrrev_b32_e32 v0, 16, v0
	.loc	1 65 31                         ; geglu_aot.py:65:31
	v_pk_mul_f32 v[12:13], v[12:13], v[18:19]
	.loc	1 55 25                         ; geglu_aot.py:55:25
	v_cvt_pk_f16_f32 v22, v16, v17
	.loc	1 64 31                         ; geglu_aot.py:64:31
	v_pk_fma_f32 v[16:17], v[30:31], v[30:31], 1.0 op_sel_hi:[1,1,0] neg_lo:[1,0,0] neg_hi:[1,0,0]
	.loc	1 64 65 is_stmt 0               ; geglu_aot.py:64:65
	v_pk_fma_f32 v[18:19], v[94:95], v[26:27], 1.0 op_sel_hi:[1,1,0]
	.loc	1 65 31 is_stmt 1               ; geglu_aot.py:65:31
	v_cvt_f32_f16_e32 v20, v21
	v_cvt_f32_f16_sdwa v21, v21 dst_sel:DWORD dst_unused:UNUSED_PAD src0_sel:WORD_1
	.loc	1 67 30                         ; geglu_aot.py:67:30
	v_cvt_pk_f16_f32 v2, v4, v5
	buffer_store_short v0, v90, s[4:7], 0 offen
	buffer_store_short v1, v91, s[4:7], 0 offen
	v_lshrrev_b32_e32 v0, 16, v1
	.loc	1 64 27                         ; geglu_aot.py:64:27
	v_pk_mul_f32 v[16:17], v[64:65], v[16:17]
	.loc	1 64 61 is_stmt 0               ; geglu_aot.py:64:61
	v_pk_mul_f32 v[18:19], v[18:19], s[2:3] op_sel_hi:[1,0]
	.loc	1 67 30 is_stmt 1               ; geglu_aot.py:67:30
	v_cvt_pk_f16_f32 v3, v6, v7
	buffer_store_short v0, v88, s[4:7], 0 offen
	buffer_store_short v2, v89, s[4:7], 0 offen
	v_lshrrev_b32_e32 v0, 16, v2
	.loc	1 64 43                         ; geglu_aot.py:64:43
	v_pk_mul_f32 v[16:17], v[18:19], v[16:17]
	.loc	1 67 30                         ; geglu_aot.py:67:30
	v_cvt_pk_f16_f32 v4, v8, v9
	buffer_store_short v0, v86, s[4:7], 0 offen
	buffer_store_short v3, v87, s[4:7], 0 offen
	v_lshrrev_b32_e32 v0, 16, v3
	.loc	1 65 39                         ; geglu_aot.py:65:39
	v_pk_fma_f32 v[14:15], v[14:15], 0.5, v[16:17] op_sel_hi:[1,0,1]
	.loc	1 67 30                         ; geglu_aot.py:67:30
	v_cvt_pk_f16_f32 v5, v10, v11
	buffer_store_short v0, v84, s[4:7], 0 offen
	buffer_store_short v4, v32, s[4:7], 0 offen
	v_lshrrev_b32_e32 v0, 16, v4
	.loc	1 65 31                         ; geglu_aot.py:65:31
	v_pk_mul_f32 v[14:15], v[14:15], v[20:21]
	.loc	1 67 30                         ; geglu_aot.py:67:30
	v_cvt_pk_f16_f32 v6, v12, v13
	buffer_store_short v0, v82, s[4:7], 0 offen
	buffer_store_short v5, v83, s[4:7], 0 offen
	v_lshrrev_b32_e32 v0, 16, v5
	v_cvt_pk_f16_f32 v7, v14, v15
	buffer_store_short v0, v80, s[4:7], 0 offen
	buffer_store_short v6, v81, s[4:7], 0 offen
	v_lshrrev_b32_e32 v0, 16, v6
	buffer_store_short v0, v78, s[4:7], 0 offen
	buffer_store_short v7, v79, s[4:7], 0 offen
	v_lshrrev_b32_e32 v0, 16, v7
	.loc	1 57 25                         ; geglu_aot.py:57:25
	v_perm_b32 v38, v39, v38, s3
	v_perm_b32 v25, v37, v36, s3
	;; [unrolled: 1-line block ×3, first 2 shown]
	.loc	1 67 30                         ; geglu_aot.py:67:30
	buffer_store_short v0, v85, s[4:7], 0 offen
	.loc	1 68 40                         ; geglu_aot.py:68:40
	v_pk_mul_f16 v0, v99, v98
	.loc	1 68 30 is_stmt 0               ; geglu_aot.py:68:30
	s_mov_b32 s2, s10
	s_mov_b32 s3, s11
	.loc	1 68 40                         ; geglu_aot.py:68:40
	v_pk_mul_f16 v1, v49, v48
	.loc	1 68 30                         ; geglu_aot.py:68:30
	buffer_store_short v0, v33, s[0:3], 0 offen
	v_lshrrev_b32_e32 v0, 16, v0
	.loc	1 68 40                         ; geglu_aot.py:68:40
	v_pk_mul_f16 v2, v44, v46
	.loc	1 68 30                         ; geglu_aot.py:68:30
	buffer_store_short v0, v90, s[0:3], 0 offen
	buffer_store_short v1, v91, s[0:3], 0 offen
	v_lshrrev_b32_e32 v0, 16, v1
	.loc	1 68 40                         ; geglu_aot.py:68:40
	v_pk_mul_f16 v3, v42, v45
	.loc	1 68 30                         ; geglu_aot.py:68:30
	buffer_store_short v0, v88, s[0:3], 0 offen
	;; [unrolled: 6-line block ×6, first 2 shown]
	buffer_store_short v6, v81, s[0:3], 0 offen
	v_lshrrev_b32_e32 v0, 16, v6
	buffer_store_short v0, v78, s[0:3], 0 offen
	buffer_store_short v7, v79, s[0:3], 0 offen
	v_lshrrev_b32_e32 v0, 16, v7
	buffer_store_short v0, v85, s[0:3], 0 offen
	.loc	1 68 4                          ; geglu_aot.py:68:4
	s_endpgm
.Ltmp2:
	.section	.rodata,"a",@progbits
	.p2align	6, 0x0
	.amdhsa_kernel _geglu_tanh_backward_kernel
		.amdhsa_group_segment_fixed_size 0
		.amdhsa_private_segment_fixed_size 0
		.amdhsa_kernarg_size 48
		.amdhsa_user_sgpr_count 14
		.amdhsa_user_sgpr_dispatch_ptr 0
		.amdhsa_user_sgpr_queue_ptr 0
		.amdhsa_user_sgpr_kernarg_segment_ptr 1
		.amdhsa_user_sgpr_dispatch_id 0
		.amdhsa_user_sgpr_kernarg_preload_length 12
		.amdhsa_user_sgpr_kernarg_preload_offset 0
		.amdhsa_user_sgpr_private_segment_size 0
		.amdhsa_uses_dynamic_stack 0
		.amdhsa_enable_private_segment 0
		.amdhsa_system_sgpr_workgroup_id_x 1
		.amdhsa_system_sgpr_workgroup_id_y 0
		.amdhsa_system_sgpr_workgroup_id_z 0
		.amdhsa_system_sgpr_workgroup_info 0
		.amdhsa_system_vgpr_workitem_id 0
		.amdhsa_next_free_vgpr 116
		.amdhsa_next_free_sgpr 15
		.amdhsa_accum_offset 116
		.amdhsa_reserve_vcc 1
		.amdhsa_reserve_xnack_mask 1
		.amdhsa_float_round_mode_32 0
		.amdhsa_float_round_mode_16_64 0
		.amdhsa_float_denorm_mode_32 3
		.amdhsa_float_denorm_mode_16_64 3
		.amdhsa_dx10_clamp 1
		.amdhsa_ieee_mode 1
		.amdhsa_fp16_overflow 0
		.amdhsa_tg_split 0
		.amdhsa_exception_fp_ieee_invalid_op 0
		.amdhsa_exception_fp_denorm_src 0
		.amdhsa_exception_fp_ieee_div_zero 0
		.amdhsa_exception_fp_ieee_overflow 0
		.amdhsa_exception_fp_ieee_underflow 0
		.amdhsa_exception_fp_ieee_inexact 0
		.amdhsa_exception_int_div_zero 0
	.end_amdhsa_kernel
	.text
.Lfunc_end0:
	.size	_geglu_tanh_backward_kernel, .Lfunc_end0-_geglu_tanh_backward_kernel
	.cfi_endproc
                                        ; -- End function
	.set _geglu_tanh_backward_kernel.num_vgpr, 116
	.set _geglu_tanh_backward_kernel.num_agpr, 0
	.set _geglu_tanh_backward_kernel.numbered_sgpr, 15
	.set _geglu_tanh_backward_kernel.num_named_barrier, 0
	.set _geglu_tanh_backward_kernel.private_seg_size, 0
	.set _geglu_tanh_backward_kernel.uses_vcc, 1
	.set _geglu_tanh_backward_kernel.uses_flat_scratch, 0
	.set _geglu_tanh_backward_kernel.has_dyn_sized_stack, 0
	.set _geglu_tanh_backward_kernel.has_recursion, 0
	.set _geglu_tanh_backward_kernel.has_indirect_call, 0
	.section	.AMDGPU.csdata,"",@progbits
; Kernel info:
; codeLenInByte = 6916
; TotalNumSgprs: 21
; NumVgprs: 116
; NumAgprs: 0
; TotalNumVgprs: 116
; ScratchSize: 0
; MemoryBound: 0
; FloatMode: 240
; IeeeMode: 1
; LDSByteSize: 0 bytes/workgroup (compile time only)
; SGPRBlocks: 2
; VGPRBlocks: 14
; NumSGPRsForWavesPerEU: 21
; NumVGPRsForWavesPerEU: 116
; AccumOffset: 116
; Occupancy: 4
; WaveLimiterHint : 0
; COMPUTE_PGM_RSRC2:SCRATCH_EN: 0
; COMPUTE_PGM_RSRC2:USER_SGPR: 14
; COMPUTE_PGM_RSRC2:TRAP_HANDLER: 0
; COMPUTE_PGM_RSRC2:TGID_X_EN: 1
; COMPUTE_PGM_RSRC2:TGID_Y_EN: 0
; COMPUTE_PGM_RSRC2:TGID_Z_EN: 0
; COMPUTE_PGM_RSRC2:TIDIG_COMP_CNT: 0
; COMPUTE_PGM_RSRC3_GFX90A:ACCUM_OFFSET: 28
; COMPUTE_PGM_RSRC3_GFX90A:TG_SPLIT: 0
	.text
	.p2alignl 6, 3212836864
	.fill 256, 4, 3212836864
	.section	.AMDGPU.gpr_maximums,"",@progbits
	.set amdgpu.max_num_vgpr, 0
	.set amdgpu.max_num_agpr, 0
	.set amdgpu.max_num_sgpr, 0
	.set amdgpu.max_num_named_barrier, 0
	.text
	.section	.debug_abbrev,"",@progbits
	.byte	1                               ; Abbreviation Code
	.byte	17                              ; DW_TAG_compile_unit
	.byte	0                               ; DW_CHILDREN_no
	.byte	37                              ; DW_AT_producer
	.byte	14                              ; DW_FORM_strp
	.byte	19                              ; DW_AT_language
	.byte	5                               ; DW_FORM_data2
	.byte	3                               ; DW_AT_name
	.byte	14                              ; DW_FORM_strp
	.byte	16                              ; DW_AT_stmt_list
	.byte	23                              ; DW_FORM_sec_offset
	.byte	27                              ; DW_AT_comp_dir
	.byte	14                              ; DW_FORM_strp
	.byte	17                              ; DW_AT_low_pc
	.byte	1                               ; DW_FORM_addr
	.byte	18                              ; DW_AT_high_pc
	.byte	6                               ; DW_FORM_data4
	.byte	0                               ; EOM(1)
	.byte	0                               ; EOM(2)
	;; [unrolled: 1-line block ×3, first 2 shown]
	.section	.debug_info,"",@progbits
.Lcu_begin0:
	.long	.Ldebug_info_end0-.Ldebug_info_start0 ; Length of Unit
.Ldebug_info_start0:
	.short	4                               ; DWARF version number
	.long	.debug_abbrev                   ; Offset Into Abbrev. Section
	.byte	8                               ; Address Size (in bytes)
	.byte	1                               ; Abbrev [1] 0xb:0x1f DW_TAG_compile_unit
	.long	.Linfo_string0                  ; DW_AT_producer
	.short	2                               ; DW_AT_language
	.long	.Linfo_string1                  ; DW_AT_name
	.long	.Lline_table_start0             ; DW_AT_stmt_list
	.long	.Linfo_string2                  ; DW_AT_comp_dir
	.quad	.Lfunc_begin0                   ; DW_AT_low_pc
	.long	.Lfunc_end0-.Lfunc_begin0       ; DW_AT_high_pc
.Ldebug_info_end0:
	.section	.debug_str,"MS",@progbits,1
.Linfo_string0:
	.asciz	"triton"                        ; string offset=0
.Linfo_string1:
	.asciz	"geglu_aot.py"                  ; string offset=7
.Linfo_string2:
	.asciz	"/root/src/amdgpu-assembly/repos/linkedin__Liger-Kernel/triton_aot_kernels" ; string offset=20
	.section	".note.GNU-stack","",@progbits
	.amdgpu_metadata
---
amdhsa.kernels:
  - .agpr_count:     0
    .args:
      - .address_space:  global
        .offset:         0
        .size:           8
        .value_kind:     global_buffer
      - .address_space:  global
        .offset:         8
        .size:           8
        .value_kind:     global_buffer
      - .address_space:  global
        .offset:         16
        .size:           8
        .value_kind:     global_buffer
      - .offset:         24
        .size:           4
        .value_kind:     by_value
      - .address_space:  global
        .offset:         32
        .size:           8
        .value_kind:     global_buffer
      - .address_space:  global
        .offset:         40
        .size:           8
        .value_kind:     global_buffer
    .group_segment_fixed_size: 0
    .kernarg_segment_align: 8
    .kernarg_segment_size: 48
    .max_flat_workgroup_size: 256
    .name:           _geglu_tanh_backward_kernel
    .private_segment_fixed_size: 0
    .sgpr_count:     21
    .sgpr_spill_count: 0
    .symbol:         _geglu_tanh_backward_kernel.kd
    .uniform_work_group_size: 1
    .uses_dynamic_stack: false
    .vgpr_count:     116
    .vgpr_spill_count: 0
    .wavefront_size: 64
amdhsa.target:   amdgcn-amd-amdhsa--gfx950
amdhsa.version:
  - 1
  - 2
...

	.end_amdgpu_metadata
	.section	.debug_line,"",@progbits
.Lline_table_start0:
